;; amdgpu-corpus repo=ROCm/rocFFT kind=compiled arch=gfx1030 opt=O3
	.text
	.amdgcn_target "amdgcn-amd-amdhsa--gfx1030"
	.amdhsa_code_object_version 6
	.protected	fft_rtc_back_len343_factors_7_7_7_wgs_245_tpt_49_sp_op_CI_CI_sbcc_twdbase8_2step ; -- Begin function fft_rtc_back_len343_factors_7_7_7_wgs_245_tpt_49_sp_op_CI_CI_sbcc_twdbase8_2step
	.globl	fft_rtc_back_len343_factors_7_7_7_wgs_245_tpt_49_sp_op_CI_CI_sbcc_twdbase8_2step
	.p2align	8
	.type	fft_rtc_back_len343_factors_7_7_7_wgs_245_tpt_49_sp_op_CI_CI_sbcc_twdbase8_2step,@function
fft_rtc_back_len343_factors_7_7_7_wgs_245_tpt_49_sp_op_CI_CI_sbcc_twdbase8_2step: ; @fft_rtc_back_len343_factors_7_7_7_wgs_245_tpt_49_sp_op_CI_CI_sbcc_twdbase8_2step
; %bb.0:
	s_clause 0x1
	s_load_dwordx4 s[16:19], s[4:5], 0x18
	s_load_dwordx2 s[30:31], s[4:5], 0x28
	s_mov_b64 s[24:25], 0
	s_waitcnt lgkmcnt(0)
	s_load_dwordx2 s[28:29], s[16:17], 0x8
	s_waitcnt lgkmcnt(0)
	s_add_u32 s0, s28, -1
	s_addc_u32 s1, s29, -1
	s_add_u32 s2, 0, 0x3330c000
	s_addc_u32 s3, 0, 0xb3
	s_mul_hi_u32 s8, s2, -5
	s_add_i32 s3, s3, 0x33333280
	s_sub_i32 s8, s8, s2
	s_mul_i32 s10, s3, -5
	s_mul_i32 s7, s2, -5
	s_add_i32 s8, s8, s10
	s_mul_hi_u32 s9, s2, s7
	s_mul_i32 s12, s2, s8
	s_mul_hi_u32 s10, s2, s8
	s_mul_hi_u32 s11, s3, s7
	s_mul_i32 s7, s3, s7
	s_add_u32 s9, s9, s12
	s_addc_u32 s10, 0, s10
	s_mul_hi_u32 s13, s3, s8
	s_add_u32 s7, s9, s7
	s_mul_i32 s8, s3, s8
	s_addc_u32 s7, s10, s11
	s_addc_u32 s9, s13, 0
	s_add_u32 s7, s7, s8
	v_add_co_u32 v1, s2, s2, s7
	s_addc_u32 s7, 0, s9
	s_cmp_lg_u32 s2, 0
	s_addc_u32 s2, s3, s7
	v_readfirstlane_b32 s3, v1
	s_mul_i32 s8, s0, s2
	s_mul_hi_u32 s7, s0, s2
	s_mul_hi_u32 s9, s1, s2
	s_mul_i32 s2, s1, s2
	s_mul_hi_u32 s10, s0, s3
	s_mul_hi_u32 s11, s1, s3
	s_mul_i32 s3, s1, s3
	s_add_u32 s8, s10, s8
	s_addc_u32 s7, 0, s7
	s_add_u32 s3, s8, s3
	s_addc_u32 s3, s7, s11
	s_addc_u32 s7, s9, 0
	s_add_u32 s2, s3, s2
	s_addc_u32 s3, 0, s7
	s_mul_i32 s8, s2, 5
	s_add_u32 s7, s2, 1
	v_sub_co_u32 v1, s0, s0, s8
	s_mul_hi_u32 s8, s2, 5
	s_addc_u32 s9, s3, 0
	s_mul_i32 s10, s3, 5
	v_sub_co_u32 v2, s11, v1, 5
	s_add_u32 s12, s2, 2
	s_addc_u32 s13, s3, 0
	s_add_i32 s8, s8, s10
	s_cmp_lg_u32 s0, 0
	v_readfirstlane_b32 s0, v2
	s_subb_u32 s1, s1, s8
	s_cmp_lg_u32 s11, 0
	s_subb_u32 s8, s1, 0
	s_cmp_gt_u32 s0, 4
	s_cselect_b32 s0, -1, 0
	s_cmp_eq_u32 s8, 0
	v_readfirstlane_b32 s8, v1
	s_cselect_b32 s0, s0, -1
	s_cmp_lg_u32 s0, 0
	s_cselect_b32 s0, s12, s7
	s_cselect_b32 s9, s13, s9
	s_cmp_gt_u32 s8, 4
	s_cselect_b32 s7, -1, 0
	s_cmp_eq_u32 s1, 0
	s_cselect_b32 s1, s7, -1
	s_mov_b32 s7, 0
	s_cmp_lg_u32 s1, 0
	s_cselect_b32 s0, s0, s2
	s_cselect_b32 s1, s9, s3
	s_add_u32 s36, s0, 1
	s_addc_u32 s37, s1, 0
	v_cmp_lt_u64_e64 s0, s[6:7], s[36:37]
	s_and_b32 vcc_lo, exec_lo, s0
	s_cbranch_vccnz .LBB0_2
; %bb.1:
	v_cvt_f32_u32_e32 v1, s36
	s_sub_i32 s1, 0, s36
	s_mov_b32 s25, s7
	v_rcp_iflag_f32_e32 v1, v1
	v_mul_f32_e32 v1, 0x4f7ffffe, v1
	v_cvt_u32_f32_e32 v1, v1
	v_readfirstlane_b32 s0, v1
	s_mul_i32 s1, s1, s0
	s_mul_hi_u32 s1, s0, s1
	s_add_i32 s0, s0, s1
	s_mul_hi_u32 s0, s6, s0
	s_mul_i32 s1, s0, s36
	s_add_i32 s2, s0, 1
	s_sub_i32 s1, s6, s1
	s_sub_i32 s3, s1, s36
	s_cmp_ge_u32 s1, s36
	s_cselect_b32 s0, s2, s0
	s_cselect_b32 s1, s3, s1
	s_add_i32 s2, s0, 1
	s_cmp_ge_u32 s1, s36
	s_cselect_b32 s24, s2, s0
.LBB0_2:
	s_load_dwordx4 s[20:23], s[18:19], 0x0
	s_load_dwordx4 s[0:3], s[30:31], 0x0
	s_clause 0x1
	s_load_dwordx4 s[12:15], s[4:5], 0x8
	s_load_dwordx2 s[26:27], s[4:5], 0x0
	s_mul_i32 s8, s24, s37
	s_mul_hi_u32 s9, s24, s36
	s_mul_i32 s10, s24, s36
	s_add_i32 s9, s9, s8
	s_sub_u32 s50, s6, s10
	s_subb_u32 s8, 0, s9
	s_mul_hi_u32 s33, s50, 5
	s_mul_i32 s34, s8, 5
	s_load_dwordx4 s[8:11], s[4:5], 0x60
	s_add_i32 s33, s33, s34
	s_mul_i32 s50, s50, 5
	s_waitcnt lgkmcnt(0)
	s_mul_i32 s4, s22, s33
	s_mul_hi_u32 s5, s22, s50
	v_cmp_lt_u64_e64 s40, s[14:15], 3
	s_mul_i32 s35, s2, s33
	s_mul_hi_u32 s38, s2, s50
	s_mul_i32 s34, s23, s50
	s_mul_i32 s39, s3, s50
	s_add_i32 s4, s5, s4
	s_add_i32 s5, s38, s35
	;; [unrolled: 1-line block ×3, first 2 shown]
	s_mul_i32 s34, s22, s50
	s_add_i32 s5, s5, s39
	s_and_b32 vcc_lo, exec_lo, s40
	s_mul_i32 s4, s2, s50
	s_cbranch_vccnz .LBB0_12
; %bb.3:
	s_add_u32 s38, s30, 16
	s_addc_u32 s39, s31, 0
	s_add_u32 s40, s18, 16
	s_addc_u32 s41, s19, 0
	;; [unrolled: 2-line block ×3, first 2 shown]
	s_mov_b64 s[42:43], 2
	s_mov_b32 s44, 0
.LBB0_4:                                ; =>This Inner Loop Header: Depth=1
	s_load_dwordx2 s[46:47], s[16:17], 0x0
	s_waitcnt lgkmcnt(0)
	s_or_b64 s[48:49], s[24:25], s[46:47]
	s_mov_b32 s45, s49
                                        ; implicit-def: $sgpr48_sgpr49
	s_cmp_lg_u64 s[44:45], 0
	s_mov_b32 s45, -1
	s_cbranch_scc0 .LBB0_6
; %bb.5:                                ;   in Loop: Header=BB0_4 Depth=1
	v_cvt_f32_u32_e32 v1, s46
	v_cvt_f32_u32_e32 v2, s47
	s_sub_u32 s49, 0, s46
	s_subb_u32 s51, 0, s47
	v_fmac_f32_e32 v1, 0x4f800000, v2
	v_rcp_f32_e32 v1, v1
	v_mul_f32_e32 v1, 0x5f7ffffc, v1
	v_mul_f32_e32 v2, 0x2f800000, v1
	v_trunc_f32_e32 v2, v2
	v_fmac_f32_e32 v1, 0xcf800000, v2
	v_cvt_u32_f32_e32 v2, v2
	v_cvt_u32_f32_e32 v1, v1
	v_readfirstlane_b32 s45, v2
	v_readfirstlane_b32 s48, v1
	s_mul_i32 s52, s49, s45
	s_mul_hi_u32 s54, s49, s48
	s_mul_i32 s53, s51, s48
	s_add_i32 s52, s54, s52
	s_mul_i32 s55, s49, s48
	s_add_i32 s52, s52, s53
	s_mul_hi_u32 s54, s48, s55
	s_mul_hi_u32 s56, s45, s55
	s_mul_i32 s53, s45, s55
	s_mul_hi_u32 s55, s48, s52
	s_mul_i32 s48, s48, s52
	s_mul_hi_u32 s57, s45, s52
	s_add_u32 s48, s54, s48
	s_addc_u32 s54, 0, s55
	s_add_u32 s48, s48, s53
	s_mul_i32 s52, s45, s52
	s_addc_u32 s48, s54, s56
	s_addc_u32 s53, s57, 0
	s_add_u32 s48, s48, s52
	s_addc_u32 s52, 0, s53
	v_add_co_u32 v1, s48, v1, s48
	s_cmp_lg_u32 s48, 0
	s_addc_u32 s45, s45, s52
	v_readfirstlane_b32 s48, v1
	s_mul_i32 s52, s49, s45
	s_mul_hi_u32 s53, s49, s48
	s_mul_i32 s51, s51, s48
	s_add_i32 s52, s53, s52
	s_mul_i32 s49, s49, s48
	s_add_i32 s52, s52, s51
	s_mul_hi_u32 s53, s45, s49
	s_mul_i32 s54, s45, s49
	s_mul_hi_u32 s49, s48, s49
	s_mul_hi_u32 s55, s48, s52
	s_mul_i32 s48, s48, s52
	s_mul_hi_u32 s51, s45, s52
	s_add_u32 s48, s49, s48
	s_addc_u32 s49, 0, s55
	s_add_u32 s48, s48, s54
	s_mul_i32 s52, s45, s52
	s_addc_u32 s48, s49, s53
	s_addc_u32 s49, s51, 0
	s_add_u32 s48, s48, s52
	s_addc_u32 s49, 0, s49
	v_add_co_u32 v1, s48, v1, s48
	s_cmp_lg_u32 s48, 0
	s_addc_u32 s45, s45, s49
	v_readfirstlane_b32 s48, v1
	s_mul_i32 s51, s24, s45
	s_mul_hi_u32 s49, s24, s45
	s_mul_hi_u32 s52, s25, s45
	s_mul_i32 s45, s25, s45
	s_mul_hi_u32 s53, s24, s48
	s_mul_hi_u32 s54, s25, s48
	s_mul_i32 s48, s25, s48
	s_add_u32 s51, s53, s51
	s_addc_u32 s49, 0, s49
	s_add_u32 s48, s51, s48
	s_addc_u32 s48, s49, s54
	s_addc_u32 s49, s52, 0
	s_add_u32 s48, s48, s45
	s_addc_u32 s49, 0, s49
	s_mul_hi_u32 s45, s46, s48
	s_mul_i32 s52, s46, s49
	s_mul_i32 s53, s46, s48
	s_add_i32 s45, s45, s52
	v_sub_co_u32 v1, s52, s24, s53
	s_mul_i32 s51, s47, s48
	s_add_i32 s45, s45, s51
	v_sub_co_u32 v2, s53, v1, s46
	s_sub_i32 s51, s25, s45
	s_cmp_lg_u32 s52, 0
	s_subb_u32 s51, s51, s47
	s_cmp_lg_u32 s53, 0
	v_readfirstlane_b32 s53, v2
	s_subb_u32 s51, s51, 0
	s_cmp_ge_u32 s51, s47
	s_cselect_b32 s54, -1, 0
	s_cmp_ge_u32 s53, s46
	s_cselect_b32 s53, -1, 0
	s_cmp_eq_u32 s51, s47
	s_cselect_b32 s51, s53, s54
	s_add_u32 s53, s48, 1
	s_addc_u32 s54, s49, 0
	s_add_u32 s55, s48, 2
	s_addc_u32 s56, s49, 0
	s_cmp_lg_u32 s51, 0
	s_cselect_b32 s51, s55, s53
	s_cselect_b32 s53, s56, s54
	s_cmp_lg_u32 s52, 0
	v_readfirstlane_b32 s52, v1
	s_subb_u32 s45, s25, s45
	s_cmp_ge_u32 s45, s47
	s_cselect_b32 s54, -1, 0
	s_cmp_ge_u32 s52, s46
	s_cselect_b32 s52, -1, 0
	s_cmp_eq_u32 s45, s47
	s_cselect_b32 s45, s52, s54
	s_cmp_lg_u32 s45, 0
	s_mov_b32 s45, 0
	s_cselect_b32 s49, s53, s49
	s_cselect_b32 s48, s51, s48
.LBB0_6:                                ;   in Loop: Header=BB0_4 Depth=1
	s_andn2_b32 vcc_lo, exec_lo, s45
	s_cbranch_vccnz .LBB0_8
; %bb.7:                                ;   in Loop: Header=BB0_4 Depth=1
	v_cvt_f32_u32_e32 v1, s46
	s_sub_i32 s48, 0, s46
	v_rcp_iflag_f32_e32 v1, v1
	v_mul_f32_e32 v1, 0x4f7ffffe, v1
	v_cvt_u32_f32_e32 v1, v1
	v_readfirstlane_b32 s45, v1
	s_mul_i32 s48, s48, s45
	s_mul_hi_u32 s48, s45, s48
	s_add_i32 s45, s45, s48
	s_mul_hi_u32 s45, s24, s45
	s_mul_i32 s48, s45, s46
	s_add_i32 s49, s45, 1
	s_sub_i32 s48, s24, s48
	s_sub_i32 s51, s48, s46
	s_cmp_ge_u32 s48, s46
	s_cselect_b32 s45, s49, s45
	s_cselect_b32 s48, s51, s48
	s_add_i32 s49, s45, 1
	s_cmp_ge_u32 s48, s46
	s_cselect_b32 s48, s49, s45
	s_mov_b32 s49, s44
.LBB0_8:                                ;   in Loop: Header=BB0_4 Depth=1
	s_load_dwordx2 s[52:53], s[40:41], 0x0
	s_load_dwordx2 s[54:55], s[38:39], 0x0
	s_mul_i32 s37, s46, s37
	s_mul_hi_u32 s45, s46, s36
	s_mul_i32 s51, s47, s36
	s_mul_i32 s47, s48, s47
	s_mul_hi_u32 s56, s48, s46
	s_mul_i32 s57, s49, s46
	s_add_i32 s37, s45, s37
	s_add_i32 s45, s56, s47
	s_mul_i32 s58, s48, s46
	s_add_i32 s37, s37, s51
	s_add_i32 s45, s45, s57
	s_sub_u32 s24, s24, s58
	s_subb_u32 s25, s25, s45
	s_mul_i32 s36, s46, s36
	s_waitcnt lgkmcnt(0)
	s_mul_i32 s45, s52, s25
	s_mul_hi_u32 s47, s52, s24
	s_mul_i32 s51, s53, s24
	s_add_i32 s45, s47, s45
	s_mul_i32 s52, s52, s24
	s_mul_i32 s25, s54, s25
	s_mul_hi_u32 s47, s54, s24
	s_add_i32 s45, s45, s51
	s_add_u32 s34, s52, s34
	s_addc_u32 s35, s45, s35
	s_add_i32 s25, s47, s25
	s_mul_i32 s45, s55, s24
	s_mul_i32 s24, s54, s24
	s_add_i32 s25, s25, s45
	s_add_u32 s4, s24, s4
	s_addc_u32 s5, s25, s5
	s_add_u32 s42, s42, 1
	s_addc_u32 s43, s43, 0
	s_add_u32 s38, s38, 8
	v_cmp_ge_u64_e64 s24, s[42:43], s[14:15]
	s_addc_u32 s39, s39, 0
	s_add_u32 s40, s40, 8
	s_addc_u32 s41, s41, 0
	s_add_u32 s16, s16, 8
	s_addc_u32 s17, s17, 0
	s_and_b32 vcc_lo, exec_lo, s24
	s_cbranch_vccnz .LBB0_10
; %bb.9:                                ;   in Loop: Header=BB0_4 Depth=1
	s_mov_b64 s[24:25], s[48:49]
	s_branch .LBB0_4
.LBB0_10:
	v_cmp_lt_u64_e64 s7, s[6:7], s[36:37]
	s_mov_b64 s[24:25], 0
	s_and_b32 vcc_lo, exec_lo, s7
	s_cbranch_vccnz .LBB0_12
; %bb.11:
	v_cvt_f32_u32_e32 v1, s36
	s_sub_i32 s16, 0, s36
	v_rcp_iflag_f32_e32 v1, v1
	v_mul_f32_e32 v1, 0x4f7ffffe, v1
	v_cvt_u32_f32_e32 v1, v1
	v_readfirstlane_b32 s7, v1
	s_mul_i32 s16, s16, s7
	s_mul_hi_u32 s16, s7, s16
	s_add_i32 s7, s7, s16
	s_mul_hi_u32 s7, s6, s7
	s_mul_i32 s16, s7, s36
	s_sub_i32 s6, s6, s16
	s_add_i32 s16, s7, 1
	s_sub_i32 s17, s6, s36
	s_cmp_ge_u32 s6, s36
	s_cselect_b32 s7, s16, s7
	s_cselect_b32 s6, s17, s6
	s_add_i32 s16, s7, 1
	s_cmp_ge_u32 s6, s36
	s_cselect_b32 s24, s16, s7
.LBB0_12:
	v_mul_u32_u24_e32 v1, 0x3334, v0
	s_lshl_b64 s[14:15], s[14:15], 3
	s_add_u32 s6, s30, s14
	s_addc_u32 s7, s31, s15
	v_lshrrev_b32_e32 v17, 16, v1
	s_add_u32 s16, s50, 5
	s_addc_u32 s17, s33, 0
	v_cmp_le_u64_e64 s16, s[16:17], s[28:29]
	v_mul_lo_u16 v1, v17, 5
	v_lshlrev_b32_e32 v20, 3, v17
	v_add_nc_u32_e32 v18, 49, v17
	v_add_nc_u32_e32 v16, 0x62, v17
	;; [unrolled: 1-line block ×3, first 2 shown]
	v_sub_nc_u16 v1, v0, v1
	v_add_nc_u32_e32 v13, 0xc4, v17
	v_add_nc_u32_e32 v14, 0xf5, v17
	v_add_nc_u32_e32 v12, 0x126, v17
	v_and_b32_e32 v19, 0xffff, v1
	v_add_co_u32 v1, s17, s50, v19
	v_add_co_ci_u32_e64 v2, null, s33, 0, s17
	v_mul_u32_u24_e32 v21, 0xab8, v19
	v_cmp_gt_u64_e32 vcc_lo, s[28:29], v[1:2]
	s_or_b32 s16, s16, vcc_lo
	s_and_saveexec_b32 s17, s16
	s_cbranch_execz .LBB0_14
; %bb.13:
	s_add_u32 s14, s18, s14
	s_addc_u32 s15, s19, s15
	v_mad_u64_u32 v[1:2], null, s22, v19, 0
	s_load_dwordx2 s[14:15], s[14:15], 0x0
	v_mad_u64_u32 v[3:4], null, s20, v17, 0
	v_mad_u64_u32 v[5:6], null, s20, v18, 0
	;; [unrolled: 1-line block ×5, first 2 shown]
	v_mov_b32_e32 v2, v4
	v_mov_b32_e32 v4, v6
	v_mad_u64_u32 v[8:9], null, s20, v16, 0
	v_mad_u64_u32 v[10:11], null, s21, v17, v[2:3]
	v_mov_b32_e32 v2, v7
	v_mad_u64_u32 v[6:7], null, s21, v18, v[4:5]
	s_waitcnt lgkmcnt(0)
	s_mul_i32 s15, s15, s24
	s_mul_hi_u32 s18, s14, s24
	s_mul_i32 s14, s14, s24
	s_add_i32 s15, s18, s15
	v_lshlrev_b64 v[1:2], 3, v[1:2]
	s_lshl_b64 s[14:15], s[14:15], 3
	v_mov_b32_e32 v4, v10
	s_add_u32 s14, s8, s14
	s_addc_u32 s15, s9, s15
	s_lshl_b64 s[8:9], s[34:35], 3
	v_mad_u64_u32 v[10:11], null, s20, v15, 0
	s_add_u32 s8, s14, s8
	s_addc_u32 s9, s15, s9
	v_add_co_u32 v30, vcc_lo, s8, v1
	v_add_co_ci_u32_e32 v31, vcc_lo, s9, v2, vcc_lo
	v_lshlrev_b64 v[1:2], 3, v[3:4]
	v_mov_b32_e32 v3, v9
	v_lshlrev_b64 v[5:6], 3, v[5:6]
	v_mad_u64_u32 v[3:4], null, s21, v16, v[3:4]
	v_mov_b32_e32 v4, v11
	v_add_co_u32 v1, vcc_lo, v30, v1
	v_add_co_ci_u32_e32 v2, vcc_lo, v31, v2, vcc_lo
	v_mov_b32_e32 v9, v3
	v_mov_b32_e32 v3, v23
	v_mad_u64_u32 v[23:24], null, s21, v15, v[4:5]
	v_mad_u64_u32 v[24:25], null, s20, v14, 0
	;; [unrolled: 1-line block ×3, first 2 shown]
	v_add_co_u32 v4, vcc_lo, v30, v5
	v_lshlrev_b64 v[7:8], 3, v[8:9]
	v_add_co_ci_u32_e32 v5, vcc_lo, v31, v6, vcc_lo
	v_mov_b32_e32 v6, v25
	v_mov_b32_e32 v11, v23
	;; [unrolled: 1-line block ×4, first 2 shown]
	v_mad_u64_u32 v[28:29], null, s21, v14, v[6:7]
	v_add_co_u32 v6, vcc_lo, v30, v7
	v_add_co_ci_u32_e32 v7, vcc_lo, v31, v8, vcc_lo
	v_lshlrev_b64 v[8:9], 3, v[10:11]
	v_mad_u64_u32 v[10:11], null, s21, v12, v[3:4]
	v_lshlrev_b64 v[22:23], 3, v[22:23]
	v_mov_b32_e32 v25, v28
	v_add_co_u32 v8, vcc_lo, v30, v8
	v_add_co_ci_u32_e32 v9, vcc_lo, v31, v9, vcc_lo
	v_mov_b32_e32 v27, v10
	v_lshlrev_b64 v[24:25], 3, v[24:25]
	v_add_co_u32 v10, vcc_lo, v30, v22
	v_add_co_ci_u32_e32 v11, vcc_lo, v31, v23, vcc_lo
	v_lshlrev_b64 v[22:23], 3, v[26:27]
	v_add_co_u32 v24, vcc_lo, v30, v24
	v_add_co_ci_u32_e32 v25, vcc_lo, v31, v25, vcc_lo
	v_add_co_u32 v22, vcc_lo, v30, v22
	v_add_co_ci_u32_e32 v23, vcc_lo, v31, v23, vcc_lo
	s_clause 0x6
	global_load_dwordx2 v[1:2], v[1:2], off
	global_load_dwordx2 v[3:4], v[4:5], off
	;; [unrolled: 1-line block ×7, first 2 shown]
	v_add3_u32 v11, 0, v21, v20
	s_waitcnt vmcnt(5)
	ds_write2_b64 v11, v[1:2], v[3:4] offset1:49
	s_waitcnt vmcnt(3)
	ds_write2_b64 v11, v[5:6], v[7:8] offset0:98 offset1:147
	s_waitcnt vmcnt(1)
	ds_write2_b64 v11, v[9:10], v[24:25] offset0:196 offset1:245
	s_waitcnt vmcnt(0)
	ds_write_b64 v11, v[22:23] offset:2352
.LBB0_14:
	s_or_b32 exec_lo, exec_lo, s17
	s_add_u32 s8, 0, 0x3330c000
	s_addc_u32 s9, 0, 0xb3
	s_mul_hi_u32 s15, s8, -5
	s_add_i32 s9, s9, 0x33333280
	v_mov_b32_e32 v1, 0x53a
	s_sub_i32 s15, s15, s8
	s_mul_i32 s18, s9, -5
	s_mul_i32 s14, s8, -5
	s_add_i32 s15, s15, s18
	s_mul_hi_u32 s17, s9, s14
	s_mul_i32 s18, s9, s14
	s_mul_i32 s19, s8, s15
	s_mul_hi_u32 s14, s8, s14
	v_mul_u32_u24_sdwa v1, v0, v1 dst_sel:DWORD dst_unused:UNUSED_PAD src0_sel:WORD_0 src1_sel:DWORD
	s_mul_hi_u32 s20, s8, s15
	s_add_u32 s14, s14, s19
	s_addc_u32 s19, 0, s20
	s_mul_hi_u32 s20, s9, s15
	s_add_u32 s14, s14, s18
	s_addc_u32 s14, s19, s17
	s_mul_i32 s15, s9, s15
	v_lshrrev_b32_e32 v5, 16, v1
	s_addc_u32 s17, s20, 0
	s_add_u32 s14, s14, s15
	s_load_dwordx2 s[6:7], s[6:7], 0x0
	v_add_co_u32 v3, s8, s8, s14
	s_addc_u32 s14, 0, s17
	s_cmp_lg_u32 s8, 0
	v_add_co_u32 v23, s8, s50, v5
	s_addc_u32 s9, s9, s14
	v_add_co_ci_u32_e64 v6, null, s33, 0, s8
	v_mad_u64_u32 v[1:2], null, v23, s9, 0
	v_mul_hi_u32 v7, v23, v3
	v_mad_u64_u32 v[3:4], null, v6, v3, 0
	v_mul_lo_u16 v5, v5, 49
	s_waitcnt lgkmcnt(0)
	s_barrier
	buffer_gl0_inv
	v_mov_b32_e32 v58, 3
	v_add_co_u32 v7, vcc_lo, v7, v1
	v_add_co_ci_u32_e32 v8, vcc_lo, 0, v2, vcc_lo
	v_mad_u64_u32 v[1:2], null, v6, s9, 0
	v_add_co_u32 v3, vcc_lo, v7, v3
	v_add_co_ci_u32_e32 v3, vcc_lo, v8, v4, vcc_lo
	v_sub_nc_u16 v31, v0, v5
	v_add_co_ci_u32_e32 v2, vcc_lo, 0, v2, vcc_lo
	v_add_co_u32 v1, vcc_lo, v3, v1
	v_and_b32_e32 v27, 0xffff, v31
	v_add_co_ci_u32_e32 v3, vcc_lo, 0, v2, vcc_lo
	v_mad_u64_u32 v[1:2], null, v1, 5, 0
	v_lshlrev_b32_e32 v25, 3, v27
	v_mul_lo_u32 v42, v23, v27
	v_add_nc_u32_e32 v43, 0xc4, v27
	v_add_nc_u32_e32 v44, 0xf5, v27
	v_mad_u64_u32 v[2:3], null, v3, 5, v[2:3]
	v_sub_co_u32 v1, vcc_lo, v23, v1
	v_mul_lo_u32 v43, v23, v43
	v_mul_lo_u32 v44, v23, v44
	v_bfe_u32 v49, v42, 8, 8
	v_lshlrev_b32_sdwa v42, v58, v42 dst_sel:DWORD dst_unused:UNUSED_PAD src0_sel:DWORD src1_sel:BYTE_0
	v_sub_co_ci_u32_e32 v2, vcc_lo, v6, v2, vcc_lo
	v_sub_co_u32 v3, vcc_lo, v1, 5
	v_subrev_co_ci_u32_e32 v4, vcc_lo, 0, v2, vcc_lo
	v_cmp_lt_u32_e32 vcc_lo, 4, v3
	v_cndmask_b32_e64 v6, 0, -1, vcc_lo
	v_cmp_lt_u32_e32 vcc_lo, 4, v1
	v_cndmask_b32_e64 v7, 0, -1, vcc_lo
	v_cmp_eq_u32_e32 vcc_lo, 0, v4
	v_cndmask_b32_e32 v4, -1, v6, vcc_lo
	v_cmp_eq_u32_e32 vcc_lo, 0, v2
	v_add_nc_u32_e32 v6, -5, v3
	v_cndmask_b32_e32 v2, -1, v7, vcc_lo
	v_cmp_ne_u32_e32 vcc_lo, 0, v4
	v_cndmask_b32_e32 v3, v3, v6, vcc_lo
	v_cmp_ne_u32_e32 vcc_lo, 0, v2
	v_cndmask_b32_e32 v0, v1, v3, vcc_lo
	v_and_b32_e32 v1, 0xff, v31
	v_mul_u32_u24_e32 v0, 0x157, v0
	v_mul_lo_u16 v1, v1, 37
	v_lshlrev_b32_e32 v26, 3, v0
	v_lshrrev_b16 v28, 8, v1
	v_add3_u32 v22, 0, v25, v26
	v_sub_nc_u16 v4, v31, v28
	v_add3_u32 v25, 0, v26, v25
	v_add_nc_u32_e32 v24, 0x400, v22
	ds_read2_b64 v[0:3], v22 offset0:147 offset1:196
	v_lshrrev_b16 v29, 1, v4
	ds_read2_b64 v[4:7], v22 offset0:49 offset1:98
	ds_read2_b64 v[8:11], v24 offset0:117 offset1:166
	v_and_b32_e32 v29, 0x7f, v29
	v_add_nc_u16 v28, v29, v28
	ds_read_b64 v[29:30], v25
	s_waitcnt lgkmcnt(0)
	s_barrier
	buffer_gl0_inv
	v_lshrrev_b16 v28, 2, v28
	v_add_f32_e32 v33, v1, v3
	v_sub_f32_e32 v1, v3, v1
	v_add_f32_e32 v32, v0, v2
	v_add_f32_e32 v3, v5, v11
	;; [unrolled: 1-line block ×3, first 2 shown]
	v_sub_f32_e32 v0, v2, v0
	v_add_f32_e32 v2, v4, v10
	v_sub_f32_e32 v4, v4, v10
	v_add_f32_e32 v10, v6, v8
	v_sub_f32_e32 v6, v6, v8
	v_sub_f32_e32 v7, v7, v9
	v_add_f32_e32 v9, v34, v3
	v_sub_f32_e32 v5, v5, v11
	v_add_f32_e32 v8, v10, v2
	v_sub_f32_e32 v11, v10, v2
	v_sub_f32_e32 v35, v34, v3
	;; [unrolled: 1-line block ×6, first 2 shown]
	v_add_f32_e32 v36, v0, v6
	v_add_f32_e32 v37, v1, v7
	v_sub_f32_e32 v38, v0, v6
	v_sub_f32_e32 v39, v1, v7
	;; [unrolled: 1-line block ×3, first 2 shown]
	v_add_f32_e32 v9, v33, v9
	v_sub_f32_e32 v40, v4, v0
	v_sub_f32_e32 v41, v5, v1
	;; [unrolled: 1-line block ×3, first 2 shown]
	v_add_f32_e32 v8, v32, v8
	v_add_f32_e32 v4, v36, v4
	;; [unrolled: 1-line block ×3, first 2 shown]
	v_mul_f32_e32 v2, 0x3f4a47b2, v2
	v_mul_f32_e32 v3, 0x3f4a47b2, v3
	;; [unrolled: 1-line block ×7, first 2 shown]
	v_add_f32_e32 v1, v30, v9
	v_mul_f32_e32 v39, 0xbf5ff5aa, v7
	v_add_f32_e32 v0, v29, v8
	v_fmamk_f32 v10, v10, 0x3d64c772, v2
	v_fmamk_f32 v29, v34, 0x3d64c772, v3
	v_fma_f32 v30, 0x3f3bfb3b, v11, -v32
	v_fma_f32 v32, 0x3f3bfb3b, v35, -v33
	;; [unrolled: 1-line block ×4, first 2 shown]
	v_fmamk_f32 v33, v40, 0xbeae86e6, v36
	v_fma_f32 v11, 0xbf5ff5aa, v6, -v36
	v_fma_f32 v35, 0xbf5ff5aa, v7, -v37
	v_fma_f32 v36, 0x3eae86e6, v40, -v38
	v_fmamk_f32 v7, v9, 0xbf955555, v1
	v_fmamk_f32 v34, v41, 0xbeae86e6, v37
	v_fma_f32 v37, 0x3eae86e6, v41, -v39
	v_fmamk_f32 v6, v8, 0xbf955555, v0
	v_fmac_f32_e32 v11, 0xbee1c552, v4
	v_fmac_f32_e32 v36, 0xbee1c552, v4
	v_add_f32_e32 v39, v29, v7
	v_add_f32_e32 v29, v3, v7
	;; [unrolled: 1-line block ×3, first 2 shown]
	v_mul_lo_u16 v32, v28, 7
	v_fmac_f32_e32 v33, 0xbee1c552, v4
	v_fmac_f32_e32 v34, 0xbee1c552, v5
	;; [unrolled: 1-line block ×4, first 2 shown]
	v_add_f32_e32 v38, v10, v6
	v_sub_f32_e32 v5, v29, v36
	v_add_f32_e32 v7, v11, v9
	v_sub_f32_e32 v9, v9, v11
	v_add_f32_e32 v11, v36, v29
	v_sub_nc_u16 v29, v31, v32
	v_mov_b32_e32 v32, 6
	v_add_f32_e32 v8, v30, v6
	v_add_f32_e32 v10, v2, v6
	v_add_f32_e32 v2, v38, v34
	v_sub_f32_e32 v3, v39, v33
	v_add_f32_e32 v31, v33, v39
	v_mad_u32_u24 v33, v27, 48, v22
	v_mul_u32_u24_sdwa v32, v29, v32 dst_sel:DWORD dst_unused:UNUSED_PAD src0_sel:BYTE_0 src1_sel:DWORD
	v_add_f32_e32 v4, v37, v10
	v_sub_f32_e32 v6, v8, v35
	v_add_f32_e32 v8, v35, v8
	v_sub_f32_e32 v10, v10, v37
	v_sub_f32_e32 v30, v38, v34
	ds_write2_b64 v33, v[0:1], v[2:3] offset1:1
	ds_write2_b64 v33, v[4:5], v[6:7] offset0:2 offset1:3
	ds_write2_b64 v33, v[8:9], v[10:11] offset0:4 offset1:5
	v_lshlrev_b32_e32 v0, 3, v32
	v_add_nc_u32_e32 v38, 0x62, v27
	ds_write_b64 v33, v[30:31] offset:48
	s_waitcnt lgkmcnt(0)
	s_barrier
	buffer_gl0_inv
	s_clause 0x2
	global_load_dwordx4 v[8:11], v0, s[26:27]
	global_load_dwordx4 v[4:7], v0, s[26:27] offset:16
	global_load_dwordx4 v[0:3], v0, s[26:27] offset:32
	v_add_nc_u32_e32 v39, 0x93, v27
	v_mul_u32_u24_e32 v34, 6, v27
	v_add_nc_u32_e32 v35, 49, v27
	ds_read2_b64 v[30:33], v22 offset0:49 offset1:98
	v_mul_lo_u32 v47, v23, v38
	v_mul_lo_u32 v48, v23, v39
	ds_read2_b64 v[38:41], v24 offset0:117 offset1:166
	v_lshlrev_b32_e32 v45, 3, v34
	v_mul_lo_u32 v46, v23, v35
	ds_read2_b64 v[34:37], v22 offset0:147 offset1:196
	v_and_b32_e32 v28, 0xffff, v28
	v_lshlrev_b32_sdwa v29, v58, v29 dst_sel:DWORD dst_unused:UNUSED_PAD src0_sel:DWORD src1_sel:BYTE_0
	v_add_nc_u32_e32 v27, 0x126, v27
	v_mad_u32_u24 v28, 0x188, v28, 0
	v_mul_lo_u32 v23, v23, v27
	v_add3_u32 v28, v28, v29, v26
	ds_read_b64 v[26:27], v25
	s_waitcnt vmcnt(0) lgkmcnt(0)
	s_barrier
	buffer_gl0_inv
	v_mul_f32_e32 v29, v9, v31
	v_mul_f32_e32 v9, v9, v30
	;; [unrolled: 1-line block ×12, first 2 shown]
	v_fmac_f32_e32 v29, v8, v30
	v_fma_f32 v8, v8, v31, -v9
	v_fmac_f32_e32 v50, v10, v32
	v_fma_f32 v9, v10, v33, -v11
	;; [unrolled: 2-line block ×6, first 2 shown]
	v_add_f32_e32 v1, v29, v54
	v_add_f32_e32 v5, v8, v2
	v_sub_f32_e32 v2, v8, v2
	v_add_f32_e32 v7, v50, v53
	v_add_f32_e32 v8, v9, v0
	v_sub_f32_e32 v6, v29, v54
	v_sub_f32_e32 v10, v50, v53
	;; [unrolled: 1-line block ×3, first 2 shown]
	v_add_f32_e32 v9, v51, v52
	v_add_f32_e32 v11, v4, v3
	v_sub_f32_e32 v29, v52, v51
	v_sub_f32_e32 v3, v3, v4
	v_add_f32_e32 v4, v7, v1
	v_add_f32_e32 v30, v8, v5
	v_sub_f32_e32 v31, v7, v1
	v_sub_f32_e32 v32, v8, v5
	;; [unrolled: 1-line block ×6, first 2 shown]
	v_add_f32_e32 v33, v29, v10
	v_add_f32_e32 v34, v3, v0
	v_sub_f32_e32 v35, v29, v10
	v_sub_f32_e32 v36, v3, v0
	;; [unrolled: 1-line block ×3, first 2 shown]
	v_add_f32_e32 v4, v9, v4
	v_add_f32_e32 v9, v11, v30
	v_sub_f32_e32 v10, v10, v6
	v_sub_f32_e32 v29, v6, v29
	;; [unrolled: 1-line block ×3, first 2 shown]
	v_add_f32_e32 v6, v33, v6
	v_add_f32_e32 v2, v34, v2
	v_mul_f32_e32 v11, 0x3f4a47b2, v1
	v_mul_f32_e32 v5, 0x3f4a47b2, v5
	;; [unrolled: 1-line block ×7, first 2 shown]
	v_add_f32_e32 v0, v4, v26
	v_add_f32_e32 v1, v9, v27
	v_mul_f32_e32 v36, 0xbf5ff5aa, v10
	v_fmamk_f32 v7, v7, 0x3d64c772, v11
	v_fmamk_f32 v8, v8, 0x3d64c772, v5
	v_fma_f32 v26, 0x3f3bfb3b, v31, -v30
	v_fma_f32 v27, 0x3f3bfb3b, v32, -v33
	;; [unrolled: 1-line block ×3, first 2 shown]
	v_fmamk_f32 v30, v29, 0xbeae86e6, v34
	v_fmamk_f32 v31, v3, 0xbeae86e6, v35
	v_fma_f32 v33, 0x3eae86e6, v3, -v38
	v_fmamk_f32 v3, v4, 0xbf955555, v0
	v_fmamk_f32 v4, v9, 0xbf955555, v1
	v_fma_f32 v5, 0xbf3bfb3b, v32, -v5
	v_fma_f32 v10, 0xbf5ff5aa, v10, -v34
	;; [unrolled: 1-line block ×4, first 2 shown]
	v_fmac_f32_e32 v30, 0xbee1c552, v6
	v_fmac_f32_e32 v31, 0xbee1c552, v2
	v_add_f32_e32 v34, v7, v3
	v_add_f32_e32 v35, v8, v4
	v_fmac_f32_e32 v10, 0xbee1c552, v6
	v_fmac_f32_e32 v32, 0xbee1c552, v2
	;; [unrolled: 1-line block ×4, first 2 shown]
	v_add_f32_e32 v8, v26, v3
	v_add_f32_e32 v11, v11, v3
	;; [unrolled: 1-line block ×5, first 2 shown]
	v_sub_f32_e32 v3, v35, v30
	v_add_f32_e32 v4, v33, v11
	v_sub_f32_e32 v5, v26, v29
	v_sub_f32_e32 v6, v8, v32
	v_add_f32_e32 v7, v10, v9
	v_add_f32_e32 v8, v32, v8
	v_sub_f32_e32 v9, v9, v10
	v_sub_f32_e32 v10, v11, v33
	v_add_f32_e32 v11, v29, v26
	v_sub_f32_e32 v26, v34, v31
	v_add_f32_e32 v27, v30, v35
	ds_write2_b64 v28, v[0:1], v[2:3] offset1:7
	ds_write2_b64 v28, v[4:5], v[6:7] offset0:14 offset1:21
	ds_write2_b64 v28, v[8:9], v[10:11] offset0:28 offset1:35
	ds_write_b64 v28, v[26:27] offset:336
	s_waitcnt lgkmcnt(0)
	s_barrier
	buffer_gl0_inv
	s_clause 0x2
	global_load_dwordx4 v[0:3], v45, s[26:27] offset:336
	global_load_dwordx4 v[4:7], v45, s[26:27] offset:352
	;; [unrolled: 1-line block ×3, first 2 shown]
	v_lshl_or_b32 v26, v49, 3, 0x800
	v_bfe_u32 v28, v46, 8, 8
	v_bfe_u32 v30, v47, 8, 8
	s_clause 0x1
	global_load_dwordx2 v[38:39], v42, s[12:13]
	global_load_dwordx2 v[40:41], v26, s[12:13]
	v_lshlrev_b32_sdwa v27, v58, v46 dst_sel:DWORD dst_unused:UNUSED_PAD src0_sel:DWORD src1_sel:BYTE_0
	v_bfe_u32 v32, v48, 8, 8
	v_bfe_u32 v34, v43, 8, 8
	v_lshl_or_b32 v26, v28, 3, 0x800
	v_lshlrev_b32_sdwa v29, v58, v47 dst_sel:DWORD dst_unused:UNUSED_PAD src0_sel:DWORD src1_sel:BYTE_0
	v_lshl_or_b32 v28, v30, 3, 0x800
	v_lshlrev_b32_sdwa v31, v58, v48 dst_sel:DWORD dst_unused:UNUSED_PAD src0_sel:DWORD src1_sel:BYTE_0
	v_lshlrev_b32_sdwa v33, v58, v43 dst_sel:DWORD dst_unused:UNUSED_PAD src0_sel:DWORD src1_sel:BYTE_0
	;; [unrolled: 1-line block ×3, first 2 shown]
	v_bfe_u32 v36, v44, 8, 8
	v_lshl_or_b32 v30, v32, 3, 0x800
	v_lshl_or_b32 v32, v34, 3, 0x800
	s_clause 0x7
	global_load_dwordx2 v[42:43], v27, s[12:13]
	global_load_dwordx2 v[44:45], v26, s[12:13]
	;; [unrolled: 1-line block ×8, first 2 shown]
	v_bfe_u32 v37, v23, 8, 8
	v_lshl_or_b32 v26, v36, 3, 0x800
	v_lshlrev_b32_sdwa v23, v58, v23 dst_sel:DWORD dst_unused:UNUSED_PAD src0_sel:DWORD src1_sel:BYTE_0
	v_lshl_or_b32 v27, v37, 3, 0x800
	s_clause 0x3
	global_load_dwordx2 v[58:59], v35, s[12:13]
	global_load_dwordx2 v[60:61], v26, s[12:13]
	;; [unrolled: 1-line block ×4, first 2 shown]
	ds_read2_b64 v[26:29], v22 offset0:49 offset1:98
	ds_read2_b64 v[30:33], v22 offset0:147 offset1:196
	;; [unrolled: 1-line block ×3, first 2 shown]
	ds_read_b64 v[23:24], v25
	s_waitcnt vmcnt(0) lgkmcnt(0)
	s_barrier
	buffer_gl0_inv
	v_mul_f32_e32 v25, v1, v27
	v_mul_f32_e32 v1, v1, v26
	;; [unrolled: 1-line block ×5, first 2 shown]
	v_fmac_f32_e32 v25, v0, v26
	v_fma_f32 v0, v0, v27, -v1
	v_fmac_f32_e32 v66, v2, v28
	v_fma_f32 v1, v2, v29, -v3
	v_mul_f32_e32 v2, v5, v30
	v_mul_f32_e32 v3, v7, v33
	;; [unrolled: 1-line block ×8, first 2 shown]
	v_fmac_f32_e32 v67, v4, v30
	v_fma_f32 v2, v4, v31, -v2
	v_fmac_f32_e32 v3, v6, v32
	v_fma_f32 v4, v6, v33, -v5
	v_mul_f32_e32 v6, v43, v45
	v_fmac_f32_e32 v7, v8, v34
	v_fma_f32 v8, v8, v35, -v9
	v_fmac_f32_e32 v26, v10, v36
	v_fma_f32 v9, v10, v37, -v11
	v_mul_f32_e32 v5, v38, v41
	v_fma_f32 v27, v38, v40, -v27
	v_fma_f32 v37, v42, v44, -v6
	v_add_f32_e32 v6, v25, v26
	v_add_f32_e32 v38, v0, v9
	v_sub_f32_e32 v25, v25, v26
	v_sub_f32_e32 v0, v0, v9
	v_add_f32_e32 v9, v66, v7
	v_add_f32_e32 v26, v1, v8
	v_mul_f32_e32 v28, v42, v45
	v_mul_f32_e32 v29, v47, v49
	v_fmac_f32_e32 v5, v39, v40
	v_sub_f32_e32 v7, v66, v7
	v_sub_f32_e32 v1, v1, v8
	v_add_f32_e32 v8, v67, v3
	v_add_f32_e32 v39, v2, v4
	v_sub_f32_e32 v3, v3, v67
	v_sub_f32_e32 v2, v4, v2
	v_add_f32_e32 v4, v9, v6
	v_add_f32_e32 v40, v26, v38
	v_mul_f32_e32 v30, v46, v49
	v_fmac_f32_e32 v28, v43, v44
	v_fma_f32 v29, v46, v48, -v29
	v_sub_f32_e32 v41, v9, v6
	v_sub_f32_e32 v42, v26, v38
	;; [unrolled: 1-line block ×6, first 2 shown]
	v_add_f32_e32 v43, v3, v7
	v_add_f32_e32 v44, v2, v1
	v_sub_f32_e32 v45, v3, v7
	v_sub_f32_e32 v46, v2, v1
	;; [unrolled: 1-line block ×3, first 2 shown]
	v_add_f32_e32 v4, v8, v4
	v_add_f32_e32 v8, v39, v40
	v_sub_f32_e32 v7, v7, v25
	v_sub_f32_e32 v3, v25, v3
	v_sub_f32_e32 v2, v0, v2
	v_add_f32_e32 v25, v43, v25
	v_add_f32_e32 v0, v44, v0
	v_mul_f32_e32 v6, 0x3f4a47b2, v6
	v_mul_f32_e32 v38, 0x3f4a47b2, v38
	;; [unrolled: 1-line block ×7, first 2 shown]
	v_add_f32_e32 v23, v4, v23
	v_add_f32_e32 v24, v8, v24
	v_mul_f32_e32 v45, 0xbf5ff5aa, v7
	v_fmamk_f32 v9, v9, 0x3d64c772, v6
	v_fmamk_f32 v26, v26, 0x3d64c772, v38
	v_fma_f32 v39, 0x3f3bfb3b, v41, -v39
	v_fma_f32 v40, 0x3f3bfb3b, v42, -v40
	;; [unrolled: 1-line block ×4, first 2 shown]
	v_fmamk_f32 v41, v3, 0xbeae86e6, v43
	v_fmamk_f32 v42, v2, 0xbeae86e6, v44
	v_fma_f32 v7, 0xbf5ff5aa, v7, -v43
	v_fma_f32 v43, 0xbf5ff5aa, v1, -v44
	;; [unrolled: 1-line block ×3, first 2 shown]
	v_fmamk_f32 v1, v4, 0xbf955555, v23
	v_fmamk_f32 v4, v8, 0xbf955555, v24
	v_fma_f32 v3, 0x3eae86e6, v3, -v45
	v_fmac_f32_e32 v41, 0xbee1c552, v25
	v_fmac_f32_e32 v42, 0xbee1c552, v0
	;; [unrolled: 1-line block ×4, first 2 shown]
	v_mul_f32_e32 v0, v24, v5
	v_mul_f32_e32 v5, v23, v5
	v_add_f32_e32 v8, v9, v1
	v_add_f32_e32 v9, v26, v4
	v_mul_f32_e32 v32, v50, v53
	v_fmac_f32_e32 v7, 0xbee1c552, v25
	v_fmac_f32_e32 v3, 0xbee1c552, v25
	v_add_f32_e32 v25, v39, v1
	v_add_f32_e32 v26, v40, v4
	;; [unrolled: 1-line block ×4, first 2 shown]
	v_mul_f32_e32 v10, v54, v57
	v_mul_f32_e32 v34, v58, v61
	;; [unrolled: 1-line block ×3, first 2 shown]
	v_fma_f32 v1, v24, v27, -v5
	v_add_f32_e32 v5, v42, v8
	v_sub_f32_e32 v24, v9, v41
	v_mul_f32_e32 v31, v51, v53
	v_fmac_f32_e32 v30, v47, v48
	v_fmac_f32_e32 v32, v51, v52
	;; [unrolled: 1-line block ×3, first 2 shown]
	v_add_f32_e32 v27, v2, v6
	v_sub_f32_e32 v38, v4, v3
	v_sub_f32_e32 v39, v25, v43
	v_add_f32_e32 v40, v7, v26
	v_mul_f32_e32 v33, v55, v57
	v_mul_f32_e32 v11, v59, v61
	v_fmac_f32_e32 v10, v55, v56
	v_fmac_f32_e32 v34, v59, v60
	v_add_f32_e32 v25, v43, v25
	v_sub_f32_e32 v26, v26, v7
	v_sub_f32_e32 v43, v6, v2
	v_add_f32_e32 v44, v3, v4
	v_mul_f32_e32 v35, v63, v65
	v_fmac_f32_e32 v36, v63, v64
	v_sub_f32_e32 v42, v8, v42
	v_add_f32_e32 v41, v41, v9
	v_mul_f32_e32 v2, v24, v28
	v_mul_f32_e32 v3, v5, v28
	v_fma_f32 v31, v50, v52, -v31
	v_mul_f32_e32 v4, v38, v30
	v_mul_f32_e32 v7, v27, v30
	;; [unrolled: 1-line block ×4, first 2 shown]
	v_fma_f32 v33, v54, v56, -v33
	v_fma_f32 v11, v58, v60, -v11
	v_mul_f32_e32 v8, v26, v10
	v_mul_f32_e32 v28, v25, v10
	;; [unrolled: 1-line block ×4, first 2 shown]
	v_fma_f32 v35, v62, v64, -v35
	v_mul_f32_e32 v23, v41, v36
	v_mul_f32_e32 v32, v42, v36
	v_fmac_f32_e32 v2, v5, v37
	v_fma_f32 v3, v24, v37, -v3
	v_fmac_f32_e32 v4, v27, v29
	v_fma_f32 v5, v38, v29, -v7
	;; [unrolled: 2-line block ×6, first 2 shown]
	ds_write2_b64 v22, v[0:1], v[2:3] offset1:49
	ds_write2_b64 v22, v[4:5], v[6:7] offset0:98 offset1:147
	ds_write2_b64 v22, v[8:9], v[10:11] offset0:196 offset1:245
	ds_write_b64 v22, v[23:24] offset:2352
	s_waitcnt lgkmcnt(0)
	s_barrier
	buffer_gl0_inv
	s_and_saveexec_b32 s8, s16
	s_cbranch_execz .LBB0_16
; %bb.15:
	v_mad_u64_u32 v[4:5], null, s2, v19, 0
	v_mad_u64_u32 v[6:7], null, s0, v17, 0
	;; [unrolled: 1-line block ×3, first 2 shown]
	s_mul_i32 s7, s7, s24
	s_mul_hi_u32 s8, s6, s24
	v_mov_b32_e32 v0, v5
	v_add3_u32 v20, 0, v21, v20
	v_mov_b32_e32 v1, v7
	s_mul_i32 s2, s6, s24
	v_mad_u64_u32 v[2:3], null, s3, v19, v[0:1]
	s_add_i32 s3, s8, s7
	s_lshl_b64 s[2:3], s[2:3], 3
	s_add_u32 s6, s10, s2
	s_addc_u32 s7, s11, s3
	v_mad_u64_u32 v[0:1], null, s1, v17, v[1:2]
	v_mov_b32_e32 v1, v9
	v_mov_b32_e32 v5, v2
	s_lshl_b64 s[2:3], s[4:5], 3
	s_add_u32 s2, s6, s2
	v_mad_u64_u32 v[9:10], null, s1, v18, v[1:2]
	v_mov_b32_e32 v7, v0
	ds_read2_b64 v[0:3], v20 offset1:49
	v_lshlrev_b64 v[4:5], 3, v[4:5]
	v_mad_u64_u32 v[10:11], null, s0, v16, 0
	v_lshlrev_b64 v[6:7], 3, v[6:7]
	s_addc_u32 s3, s7, s3
	v_add_co_u32 v21, vcc_lo, s2, v4
	v_add_co_ci_u32_e32 v22, vcc_lo, s3, v5, vcc_lo
	v_lshlrev_b64 v[4:5], 3, v[8:9]
	v_mov_b32_e32 v8, v11
	v_add_co_u32 v6, vcc_lo, v21, v6
	v_add_co_ci_u32_e32 v7, vcc_lo, v22, v7, vcc_lo
	v_add_co_u32 v4, vcc_lo, v21, v4
	v_mad_u64_u32 v[8:9], null, s1, v16, v[8:9]
	v_add_co_ci_u32_e32 v5, vcc_lo, v22, v5, vcc_lo
	v_mad_u64_u32 v[16:17], null, s0, v15, 0
	s_waitcnt lgkmcnt(0)
	global_store_dwordx2 v[6:7], v[0:1], off
	global_store_dwordx2 v[4:5], v[2:3], off
	ds_read2_b64 v[0:3], v20 offset0:98 offset1:147
	v_mov_b32_e32 v11, v8
	v_mad_u64_u32 v[7:8], null, s0, v13, 0
	v_mov_b32_e32 v6, v17
	v_lshlrev_b64 v[4:5], 3, v[10:11]
	v_mad_u64_u32 v[9:10], null, s0, v14, 0
	v_mad_u64_u32 v[17:18], null, s1, v15, v[6:7]
	v_mov_b32_e32 v6, v8
	v_mad_u64_u32 v[18:19], null, s0, v12, 0
	v_add_co_u32 v4, vcc_lo, v21, v4
	v_add_co_ci_u32_e32 v5, vcc_lo, v22, v5, vcc_lo
	v_mov_b32_e32 v8, v10
	v_mad_u64_u32 v[10:11], null, s1, v13, v[6:7]
	s_waitcnt lgkmcnt(0)
	global_store_dwordx2 v[4:5], v[0:1], off
	v_mov_b32_e32 v0, v19
	v_mad_u64_u32 v[13:14], null, s1, v14, v[8:9]
	v_lshlrev_b64 v[4:5], 3, v[16:17]
	ds_read_b64 v[15:16], v20 offset:2352
	v_mov_b32_e32 v8, v10
	v_mad_u64_u32 v[0:1], null, s1, v12, v[0:1]
	v_add_co_u32 v11, vcc_lo, v21, v4
	v_mov_b32_e32 v10, v13
	v_add_co_ci_u32_e32 v12, vcc_lo, v22, v5, vcc_lo
	v_lshlrev_b64 v[13:14], 3, v[7:8]
	ds_read2_b64 v[4:7], v20 offset0:196 offset1:245
	v_mov_b32_e32 v19, v0
	v_lshlrev_b64 v[8:9], 3, v[9:10]
	v_add_co_u32 v0, vcc_lo, v21, v13
	v_add_co_ci_u32_e32 v1, vcc_lo, v22, v14, vcc_lo
	v_lshlrev_b64 v[13:14], 3, v[18:19]
	v_add_co_u32 v8, vcc_lo, v21, v8
	v_add_co_ci_u32_e32 v9, vcc_lo, v22, v9, vcc_lo
	v_add_co_u32 v13, vcc_lo, v21, v13
	v_add_co_ci_u32_e32 v14, vcc_lo, v22, v14, vcc_lo
	global_store_dwordx2 v[11:12], v[2:3], off
	s_waitcnt lgkmcnt(0)
	global_store_dwordx2 v[0:1], v[4:5], off
	global_store_dwordx2 v[8:9], v[6:7], off
	;; [unrolled: 1-line block ×3, first 2 shown]
.LBB0_16:
	s_endpgm
	.section	.rodata,"a",@progbits
	.p2align	6, 0x0
	.amdhsa_kernel fft_rtc_back_len343_factors_7_7_7_wgs_245_tpt_49_sp_op_CI_CI_sbcc_twdbase8_2step
		.amdhsa_group_segment_fixed_size 0
		.amdhsa_private_segment_fixed_size 0
		.amdhsa_kernarg_size 112
		.amdhsa_user_sgpr_count 6
		.amdhsa_user_sgpr_private_segment_buffer 1
		.amdhsa_user_sgpr_dispatch_ptr 0
		.amdhsa_user_sgpr_queue_ptr 0
		.amdhsa_user_sgpr_kernarg_segment_ptr 1
		.amdhsa_user_sgpr_dispatch_id 0
		.amdhsa_user_sgpr_flat_scratch_init 0
		.amdhsa_user_sgpr_private_segment_size 0
		.amdhsa_wavefront_size32 1
		.amdhsa_uses_dynamic_stack 0
		.amdhsa_system_sgpr_private_segment_wavefront_offset 0
		.amdhsa_system_sgpr_workgroup_id_x 1
		.amdhsa_system_sgpr_workgroup_id_y 0
		.amdhsa_system_sgpr_workgroup_id_z 0
		.amdhsa_system_sgpr_workgroup_info 0
		.amdhsa_system_vgpr_workitem_id 0
		.amdhsa_next_free_vgpr 68
		.amdhsa_next_free_sgpr 59
		.amdhsa_reserve_vcc 1
		.amdhsa_reserve_flat_scratch 0
		.amdhsa_float_round_mode_32 0
		.amdhsa_float_round_mode_16_64 0
		.amdhsa_float_denorm_mode_32 3
		.amdhsa_float_denorm_mode_16_64 3
		.amdhsa_dx10_clamp 1
		.amdhsa_ieee_mode 1
		.amdhsa_fp16_overflow 0
		.amdhsa_workgroup_processor_mode 1
		.amdhsa_memory_ordered 1
		.amdhsa_forward_progress 0
		.amdhsa_shared_vgpr_count 0
		.amdhsa_exception_fp_ieee_invalid_op 0
		.amdhsa_exception_fp_denorm_src 0
		.amdhsa_exception_fp_ieee_div_zero 0
		.amdhsa_exception_fp_ieee_overflow 0
		.amdhsa_exception_fp_ieee_underflow 0
		.amdhsa_exception_fp_ieee_inexact 0
		.amdhsa_exception_int_div_zero 0
	.end_amdhsa_kernel
	.text
.Lfunc_end0:
	.size	fft_rtc_back_len343_factors_7_7_7_wgs_245_tpt_49_sp_op_CI_CI_sbcc_twdbase8_2step, .Lfunc_end0-fft_rtc_back_len343_factors_7_7_7_wgs_245_tpt_49_sp_op_CI_CI_sbcc_twdbase8_2step
                                        ; -- End function
	.section	.AMDGPU.csdata,"",@progbits
; Kernel info:
; codeLenInByte = 5996
; NumSgprs: 61
; NumVgprs: 68
; ScratchSize: 0
; MemoryBound: 0
; FloatMode: 240
; IeeeMode: 1
; LDSByteSize: 0 bytes/workgroup (compile time only)
; SGPRBlocks: 7
; VGPRBlocks: 8
; NumSGPRsForWavesPerEU: 61
; NumVGPRsForWavesPerEU: 68
; Occupancy: 12
; WaveLimiterHint : 1
; COMPUTE_PGM_RSRC2:SCRATCH_EN: 0
; COMPUTE_PGM_RSRC2:USER_SGPR: 6
; COMPUTE_PGM_RSRC2:TRAP_HANDLER: 0
; COMPUTE_PGM_RSRC2:TGID_X_EN: 1
; COMPUTE_PGM_RSRC2:TGID_Y_EN: 0
; COMPUTE_PGM_RSRC2:TGID_Z_EN: 0
; COMPUTE_PGM_RSRC2:TIDIG_COMP_CNT: 0
	.text
	.p2alignl 6, 3214868480
	.fill 48, 4, 3214868480
	.type	__hip_cuid_d68ae7005e58492e,@object ; @__hip_cuid_d68ae7005e58492e
	.section	.bss,"aw",@nobits
	.globl	__hip_cuid_d68ae7005e58492e
__hip_cuid_d68ae7005e58492e:
	.byte	0                               ; 0x0
	.size	__hip_cuid_d68ae7005e58492e, 1

	.ident	"AMD clang version 19.0.0git (https://github.com/RadeonOpenCompute/llvm-project roc-6.4.0 25133 c7fe45cf4b819c5991fe208aaa96edf142730f1d)"
	.section	".note.GNU-stack","",@progbits
	.addrsig
	.addrsig_sym __hip_cuid_d68ae7005e58492e
	.amdgpu_metadata
---
amdhsa.kernels:
  - .args:
      - .actual_access:  read_only
        .address_space:  global
        .offset:         0
        .size:           8
        .value_kind:     global_buffer
      - .address_space:  global
        .offset:         8
        .size:           8
        .value_kind:     global_buffer
      - .offset:         16
        .size:           8
        .value_kind:     by_value
      - .actual_access:  read_only
        .address_space:  global
        .offset:         24
        .size:           8
        .value_kind:     global_buffer
      - .actual_access:  read_only
        .address_space:  global
        .offset:         32
        .size:           8
        .value_kind:     global_buffer
      - .actual_access:  read_only
        .address_space:  global
        .offset:         40
        .size:           8
        .value_kind:     global_buffer
      - .offset:         48
        .size:           8
        .value_kind:     by_value
      - .actual_access:  read_only
        .address_space:  global
        .offset:         56
        .size:           8
        .value_kind:     global_buffer
      - .actual_access:  read_only
        .address_space:  global
        .offset:         64
        .size:           8
        .value_kind:     global_buffer
      - .offset:         72
        .size:           4
        .value_kind:     by_value
      - .actual_access:  read_only
        .address_space:  global
        .offset:         80
        .size:           8
        .value_kind:     global_buffer
      - .actual_access:  read_only
        .address_space:  global
        .offset:         88
        .size:           8
        .value_kind:     global_buffer
      - .actual_access:  read_only
        .address_space:  global
        .offset:         96
        .size:           8
        .value_kind:     global_buffer
      - .actual_access:  write_only
        .address_space:  global
        .offset:         104
        .size:           8
        .value_kind:     global_buffer
    .group_segment_fixed_size: 0
    .kernarg_segment_align: 8
    .kernarg_segment_size: 112
    .language:       OpenCL C
    .language_version:
      - 2
      - 0
    .max_flat_workgroup_size: 245
    .name:           fft_rtc_back_len343_factors_7_7_7_wgs_245_tpt_49_sp_op_CI_CI_sbcc_twdbase8_2step
    .private_segment_fixed_size: 0
    .sgpr_count:     61
    .sgpr_spill_count: 0
    .symbol:         fft_rtc_back_len343_factors_7_7_7_wgs_245_tpt_49_sp_op_CI_CI_sbcc_twdbase8_2step.kd
    .uniform_work_group_size: 1
    .uses_dynamic_stack: false
    .vgpr_count:     68
    .vgpr_spill_count: 0
    .wavefront_size: 32
    .workgroup_processor_mode: 1
amdhsa.target:   amdgcn-amd-amdhsa--gfx1030
amdhsa.version:
  - 1
  - 2
...

	.end_amdgpu_metadata
